;; amdgpu-corpus repo=ROCm/rocFFT kind=compiled arch=gfx950 opt=O3
	.text
	.amdgcn_target "amdgcn-amd-amdhsa--gfx950"
	.amdhsa_code_object_version 6
	.protected	fft_rtc_fwd_len208_factors_13_16_wgs_64_tpt_16_halfLds_half_ip_CI_unitstride_sbrr_C2R_dirReg ; -- Begin function fft_rtc_fwd_len208_factors_13_16_wgs_64_tpt_16_halfLds_half_ip_CI_unitstride_sbrr_C2R_dirReg
	.globl	fft_rtc_fwd_len208_factors_13_16_wgs_64_tpt_16_halfLds_half_ip_CI_unitstride_sbrr_C2R_dirReg
	.p2align	8
	.type	fft_rtc_fwd_len208_factors_13_16_wgs_64_tpt_16_halfLds_half_ip_CI_unitstride_sbrr_C2R_dirReg,@function
fft_rtc_fwd_len208_factors_13_16_wgs_64_tpt_16_halfLds_half_ip_CI_unitstride_sbrr_C2R_dirReg: ; @fft_rtc_fwd_len208_factors_13_16_wgs_64_tpt_16_halfLds_half_ip_CI_unitstride_sbrr_C2R_dirReg
; %bb.0:
	s_load_dwordx2 s[8:9], s[0:1], 0x50
	s_load_dwordx4 s[4:7], s[0:1], 0x0
	s_load_dwordx2 s[10:11], s[0:1], 0x18
	v_lshrrev_b32_e32 v1, 4, v0
	v_lshl_or_b32 v6, s2, 2, v1
	v_mov_b32_e32 v4, 0
	s_waitcnt lgkmcnt(0)
	v_cmp_lt_u64_e64 s[2:3], s[6:7], 2
	v_mov_b32_e32 v7, v4
	s_and_b64 vcc, exec, s[2:3]
	v_mov_b64_e32 v[2:3], 0
	s_cbranch_vccnz .LBB0_8
; %bb.1:
	s_load_dwordx2 s[2:3], s[0:1], 0x10
	s_add_u32 s12, s10, 8
	s_addc_u32 s13, s11, 0
	s_mov_b64 s[14:15], 1
	v_mov_b64_e32 v[2:3], 0
	s_waitcnt lgkmcnt(0)
	s_add_u32 s16, s2, 8
	s_addc_u32 s17, s3, 0
.LBB0_2:                                ; =>This Inner Loop Header: Depth=1
	s_load_dwordx2 s[18:19], s[16:17], 0x0
                                        ; implicit-def: $vgpr8_vgpr9
	s_waitcnt lgkmcnt(0)
	v_or_b32_e32 v5, s19, v7
	v_cmp_ne_u64_e32 vcc, 0, v[4:5]
	s_and_saveexec_b64 s[2:3], vcc
	s_xor_b64 s[20:21], exec, s[2:3]
	s_cbranch_execz .LBB0_4
; %bb.3:                                ;   in Loop: Header=BB0_2 Depth=1
	v_cvt_f32_u32_e32 v5, s18
	v_cvt_f32_u32_e32 v8, s19
	s_sub_u32 s2, 0, s18
	s_subb_u32 s3, 0, s19
	v_fmac_f32_e32 v5, 0x4f800000, v8
	v_rcp_f32_e32 v5, v5
	s_nop 0
	v_mul_f32_e32 v5, 0x5f7ffffc, v5
	v_mul_f32_e32 v8, 0x2f800000, v5
	v_trunc_f32_e32 v8, v8
	v_fmac_f32_e32 v5, 0xcf800000, v8
	v_cvt_u32_f32_e32 v12, v8
	v_cvt_u32_f32_e32 v5, v5
	v_mul_lo_u32 v8, s2, v12
	v_mul_hi_u32 v10, s2, v5
	v_mul_lo_u32 v9, s3, v5
	v_add_u32_e32 v10, v10, v8
	v_mul_lo_u32 v13, s2, v5
	v_add_u32_e32 v14, v10, v9
	v_mul_hi_u32 v8, v5, v13
	v_mul_hi_u32 v11, v5, v14
	v_mul_lo_u32 v10, v5, v14
	v_mov_b32_e32 v9, v4
	v_lshl_add_u64 v[8:9], v[8:9], 0, v[10:11]
	v_mul_hi_u32 v11, v12, v13
	v_mul_lo_u32 v13, v12, v13
	v_add_co_u32_e32 v8, vcc, v8, v13
	v_mul_hi_u32 v10, v12, v14
	s_nop 0
	v_addc_co_u32_e32 v8, vcc, v9, v11, vcc
	v_mov_b32_e32 v9, v4
	s_nop 0
	v_addc_co_u32_e32 v11, vcc, 0, v10, vcc
	v_mul_lo_u32 v10, v12, v14
	v_lshl_add_u64 v[8:9], v[8:9], 0, v[10:11]
	v_add_co_u32_e32 v5, vcc, v5, v8
	v_mul_lo_u32 v10, s2, v5
	s_nop 0
	v_addc_co_u32_e32 v12, vcc, v12, v9, vcc
	v_mul_lo_u32 v8, s2, v12
	v_mul_hi_u32 v9, s2, v5
	v_add_u32_e32 v8, v9, v8
	v_mul_lo_u32 v9, s3, v5
	v_add_u32_e32 v13, v8, v9
	v_mul_hi_u32 v15, v12, v10
	v_mul_lo_u32 v16, v12, v10
	v_mul_hi_u32 v9, v5, v13
	v_mul_lo_u32 v8, v5, v13
	v_mul_hi_u32 v10, v5, v10
	v_mov_b32_e32 v11, v4
	v_lshl_add_u64 v[8:9], v[10:11], 0, v[8:9]
	v_add_co_u32_e32 v8, vcc, v8, v16
	v_mul_hi_u32 v14, v12, v13
	s_nop 0
	v_addc_co_u32_e32 v8, vcc, v9, v15, vcc
	v_mul_lo_u32 v10, v12, v13
	s_nop 0
	v_addc_co_u32_e32 v11, vcc, 0, v14, vcc
	v_mov_b32_e32 v9, v4
	v_lshl_add_u64 v[8:9], v[8:9], 0, v[10:11]
	v_add_co_u32_e32 v5, vcc, v5, v8
	v_mul_hi_u32 v10, v6, v5
	s_nop 0
	v_addc_co_u32_e32 v12, vcc, v12, v9, vcc
	v_mad_u64_u32 v[8:9], s[2:3], v6, v12, 0
	v_mov_b32_e32 v11, v4
	v_lshl_add_u64 v[8:9], v[10:11], 0, v[8:9]
	v_mad_u64_u32 v[10:11], s[2:3], v7, v12, 0
	v_mad_u64_u32 v[12:13], s[2:3], v7, v5, 0
	v_add_co_u32_e32 v5, vcc, v8, v12
	s_nop 1
	v_addc_co_u32_e32 v8, vcc, v9, v13, vcc
	v_mov_b32_e32 v9, v4
	s_nop 0
	v_addc_co_u32_e32 v11, vcc, 0, v11, vcc
	v_lshl_add_u64 v[8:9], v[8:9], 0, v[10:11]
	v_mul_lo_u32 v5, s19, v8
	v_mul_lo_u32 v12, s18, v9
	v_mad_u64_u32 v[10:11], s[2:3], s18, v8, 0
	v_add3_u32 v5, v11, v12, v5
	v_sub_u32_e32 v11, v7, v5
	v_mov_b32_e32 v12, s19
	v_sub_co_u32_e32 v14, vcc, v6, v10
	s_nop 1
	v_subb_co_u32_e64 v10, s[2:3], v11, v12, vcc
	v_subrev_co_u32_e64 v11, s[2:3], s18, v14
	v_subb_co_u32_e32 v5, vcc, v7, v5, vcc
	s_nop 0
	v_subbrev_co_u32_e64 v10, s[2:3], 0, v10, s[2:3]
	v_cmp_le_u32_e64 s[2:3], s19, v10
	v_cmp_le_u32_e32 vcc, s19, v5
	s_nop 0
	v_cndmask_b32_e64 v12, 0, -1, s[2:3]
	v_cmp_le_u32_e64 s[2:3], s18, v11
	s_nop 1
	v_cndmask_b32_e64 v11, 0, -1, s[2:3]
	v_cmp_eq_u32_e64 s[2:3], s19, v10
	s_nop 1
	v_cndmask_b32_e64 v15, v12, v11, s[2:3]
	v_lshl_add_u64 v[10:11], v[8:9], 0, 2
	v_lshl_add_u64 v[12:13], v[8:9], 0, 1
	v_cmp_ne_u32_e64 s[2:3], 0, v15
	s_nop 1
	v_cndmask_b32_e64 v11, v13, v11, s[2:3]
	v_cndmask_b32_e64 v13, 0, -1, vcc
	v_cmp_le_u32_e32 vcc, s18, v14
	s_nop 1
	v_cndmask_b32_e64 v14, 0, -1, vcc
	v_cmp_eq_u32_e32 vcc, s19, v5
	s_nop 1
	v_cndmask_b32_e32 v5, v13, v14, vcc
	v_cmp_ne_u32_e32 vcc, 0, v5
	v_cndmask_b32_e64 v5, v12, v10, s[2:3]
	s_nop 0
	v_cndmask_b32_e32 v9, v9, v11, vcc
	v_cndmask_b32_e32 v8, v8, v5, vcc
.LBB0_4:                                ;   in Loop: Header=BB0_2 Depth=1
	s_andn2_saveexec_b64 s[2:3], s[20:21]
	s_cbranch_execz .LBB0_6
; %bb.5:                                ;   in Loop: Header=BB0_2 Depth=1
	v_cvt_f32_u32_e32 v5, s18
	s_sub_i32 s20, 0, s18
	v_rcp_iflag_f32_e32 v5, v5
	s_nop 0
	v_mul_f32_e32 v5, 0x4f7ffffe, v5
	v_cvt_u32_f32_e32 v5, v5
	v_mul_lo_u32 v8, s20, v5
	v_mul_hi_u32 v8, v5, v8
	v_add_u32_e32 v5, v5, v8
	v_mul_hi_u32 v5, v6, v5
	v_mul_lo_u32 v8, v5, s18
	v_sub_u32_e32 v8, v6, v8
	v_add_u32_e32 v9, 1, v5
	v_subrev_u32_e32 v10, s18, v8
	v_cmp_le_u32_e32 vcc, s18, v8
	s_nop 1
	v_cndmask_b32_e32 v8, v8, v10, vcc
	v_cndmask_b32_e32 v5, v5, v9, vcc
	v_add_u32_e32 v9, 1, v5
	v_cmp_le_u32_e32 vcc, s18, v8
	s_nop 1
	v_cndmask_b32_e32 v8, v5, v9, vcc
	v_mov_b32_e32 v9, v4
.LBB0_6:                                ;   in Loop: Header=BB0_2 Depth=1
	s_or_b64 exec, exec, s[2:3]
	v_mad_u64_u32 v[10:11], s[2:3], v8, s18, 0
	s_load_dwordx2 s[2:3], s[12:13], 0x0
	v_mul_lo_u32 v5, v9, s18
	v_mul_lo_u32 v12, v8, s19
	v_add3_u32 v5, v11, v12, v5
	v_sub_co_u32_e32 v6, vcc, v6, v10
	s_add_u32 s14, s14, 1
	s_nop 0
	v_subb_co_u32_e32 v5, vcc, v7, v5, vcc
	s_addc_u32 s15, s15, 0
	s_waitcnt lgkmcnt(0)
	v_mul_lo_u32 v5, s2, v5
	v_mul_lo_u32 v7, s3, v6
	v_mad_u64_u32 v[2:3], s[2:3], s2, v6, v[2:3]
	s_add_u32 s12, s12, 8
	v_add3_u32 v3, v7, v3, v5
	s_addc_u32 s13, s13, 0
	v_mov_b64_e32 v[6:7], s[6:7]
	s_add_u32 s16, s16, 8
	v_cmp_ge_u64_e32 vcc, s[14:15], v[6:7]
	s_addc_u32 s17, s17, 0
	s_cbranch_vccnz .LBB0_9
; %bb.7:                                ;   in Loop: Header=BB0_2 Depth=1
	v_mov_b64_e32 v[6:7], v[8:9]
	s_branch .LBB0_2
.LBB0_8:
	v_mov_b64_e32 v[8:9], v[6:7]
.LBB0_9:
	s_lshl_b64 s[2:3], s[6:7], 3
	s_add_u32 s2, s10, s2
	s_addc_u32 s3, s11, s3
	s_load_dwordx2 s[6:7], s[2:3], 0x0
	s_load_dwordx2 s[10:11], s[0:1], 0x20
	v_mul_u32_u24_e32 v1, 0xd1, v1
	v_and_b32_e32 v6, 15, v0
	s_waitcnt lgkmcnt(0)
	v_mul_lo_u32 v4, s6, v9
	v_mul_lo_u32 v5, s7, v8
	v_mad_u64_u32 v[2:3], s[0:1], s6, v8, v[2:3]
	v_add3_u32 v3, v5, v3, v4
	v_cmp_gt_u64_e32 vcc, s[10:11], v[8:9]
	v_lshl_add_u64 v[4:5], v[2:3], 2, s[8:9]
	v_lshlrev_b32_e32 v2, 2, v1
	s_and_saveexec_b64 s[2:3], vcc
	s_cbranch_execz .LBB0_13
; %bb.10:
	v_lshlrev_b32_e32 v8, 2, v6
	v_mov_b32_e32 v9, 0
	v_lshl_add_u64 v[10:11], v[4:5], 0, v[8:9]
	global_load_dword v3, v[10:11], off
	global_load_dword v7, v[10:11], off offset:64
	global_load_dword v9, v[10:11], off offset:128
	;; [unrolled: 1-line block ×12, first 2 shown]
	v_add3_u32 v0, 0, v2, v8
	v_cmp_eq_u32_e64 s[0:1], 15, v6
	s_waitcnt vmcnt(11)
	ds_write2_b32 v0, v3, v7 offset1:16
	s_waitcnt vmcnt(9)
	ds_write2_b32 v0, v9, v12 offset0:32 offset1:48
	s_waitcnt vmcnt(7)
	ds_write2_b32 v0, v13, v14 offset0:64 offset1:80
	;; [unrolled: 2-line block ×5, first 2 shown]
	s_waitcnt vmcnt(0)
	ds_write_b32 v0, v21 offset:768
	s_and_saveexec_b64 s[6:7], s[0:1]
	s_cbranch_execz .LBB0_12
; %bb.11:
	global_load_dword v3, v[4:5], off offset:832
	v_mov_b32_e32 v6, 15
	s_waitcnt vmcnt(0)
	ds_write_b32 v0, v3 offset:772
.LBB0_12:
	s_or_b64 exec, exec, s[6:7]
.LBB0_13:
	s_or_b64 exec, exec, s[2:3]
	v_lshl_add_u32 v18, v1, 2, 0
	v_lshlrev_b32_e32 v3, 2, v6
	v_add_u32_e32 v19, v18, v3
	s_waitcnt lgkmcnt(0)
	; wave barrier
	s_waitcnt lgkmcnt(0)
	v_sub_u32_e32 v8, v18, v3
	ds_read_u16 v11, v19
	ds_read_u16 v12, v8 offset:832
	v_cmp_ne_u32_e64 s[0:1], 0, v6
                                        ; implicit-def: $vgpr0_vgpr1
	s_waitcnt lgkmcnt(0)
	v_add_f16_e32 v9, v12, v11
	v_sub_f16_e32 v10, v11, v12
	s_and_saveexec_b64 s[2:3], s[0:1]
	s_xor_b64 s[0:1], exec, s[2:3]
	s_cbranch_execz .LBB0_15
; %bb.14:
	global_load_dword v0, v3, s[4:5] offset:780
	ds_read_u16 v1, v8 offset:834
	ds_read_u16 v9, v19 offset:2
	v_add_f16_e32 v10, v12, v11
	v_sub_f16_e32 v11, v11, v12
	v_mov_b32_e32 v7, 0
	s_waitcnt lgkmcnt(0)
	v_add_f16_e32 v12, v1, v9
	v_sub_f16_e32 v1, v9, v1
	s_waitcnt vmcnt(0)
	v_lshrrev_b32_e32 v9, 16, v0
	v_fma_f16 v13, v11, v9, v10
	v_fma_f16 v14, v12, v9, v1
	v_fma_f16 v15, -v11, v9, v10
	v_fma_f16 v1, v12, v9, -v1
	v_fma_f16 v9, -v0, v12, v13
	v_fma_f16 v10, v11, v0, v14
	v_fma_f16 v12, v0, v12, v15
	;; [unrolled: 1-line block ×3, first 2 shown]
	v_pack_b32_f16 v0, v12, v0
	ds_write_b32 v8, v0 offset:832
	v_mov_b64_e32 v[0:1], v[6:7]
.LBB0_15:
	s_andn2_saveexec_b64 s[0:1], s[0:1]
	s_cbranch_execz .LBB0_17
; %bb.16:
	ds_read_b32 v0, v18 offset:416
	s_mov_b32 s2, 0xc0004000
	s_waitcnt lgkmcnt(0)
	v_pk_mul_f16 v0, v0, s2
	ds_write_b32 v18, v0 offset:416
	v_mov_b64_e32 v[0:1], 0
.LBB0_17:
	s_or_b64 exec, exec, s[0:1]
	s_add_u32 s0, s4, 0x30c
	s_addc_u32 s1, s5, 0
	v_lshl_add_u64 v[0:1], v[0:1], 2, s[0:1]
	global_load_dword v7, v[0:1], off offset:64
	global_load_dword v11, v[0:1], off offset:128
	;; [unrolled: 1-line block ×4, first 2 shown]
	s_mov_b32 s6, 0x5040100
	v_perm_b32 v9, v10, v9, s6
	ds_write_b32 v19, v9
	ds_read_b32 v9, v19 offset:64
	ds_read_b32 v10, v8 offset:768
	global_load_dword v14, v[0:1], off offset:320
	s_movk_i32 s0, 0x68
	s_waitcnt lgkmcnt(0)
	v_add_f16_e32 v15, v9, v10
	v_add_f16_sdwa v16, v10, v9 dst_sel:DWORD dst_unused:UNUSED_PAD src0_sel:WORD_1 src1_sel:WORD_1
	v_sub_f16_e32 v17, v9, v10
	v_sub_f16_sdwa v9, v9, v10 dst_sel:DWORD dst_unused:UNUSED_PAD src0_sel:WORD_1 src1_sel:WORD_1
	s_waitcnt vmcnt(4)
	v_lshrrev_b32_e32 v10, 16, v7
	v_fma_f16 v20, v17, v10, v15
	v_fma_f16 v21, v16, v10, v9
	v_fma_f16 v15, -v17, v10, v15
	v_fma_f16 v9, v16, v10, -v9
	v_fma_f16 v10, -v7, v16, v20
	v_fma_f16 v20, v17, v7, v21
	v_fma_f16 v15, v7, v16, v15
	v_fma_f16 v7, v17, v7, v9
	v_pack_b32_f16 v9, v10, v20
	v_pack_b32_f16 v7, v15, v7
	ds_write_b32 v19, v9 offset:64
	ds_write_b32 v8, v7 offset:768
	ds_read_b32 v7, v19 offset:128
	ds_read_b32 v9, v8 offset:704
	s_waitcnt vmcnt(3)
	v_lshrrev_b32_e32 v10, 16, v11
	s_waitcnt lgkmcnt(0)
	v_add_f16_e32 v15, v7, v9
	v_add_f16_sdwa v16, v9, v7 dst_sel:DWORD dst_unused:UNUSED_PAD src0_sel:WORD_1 src1_sel:WORD_1
	v_sub_f16_e32 v17, v7, v9
	v_sub_f16_sdwa v7, v7, v9 dst_sel:DWORD dst_unused:UNUSED_PAD src0_sel:WORD_1 src1_sel:WORD_1
	v_fma_f16 v9, v17, v10, v15
	v_fma_f16 v20, v16, v10, v7
	v_fma_f16 v15, -v17, v10, v15
	v_fma_f16 v7, v16, v10, -v7
	v_fma_f16 v9, -v11, v16, v9
	v_fma_f16 v10, v17, v11, v20
	v_fma_f16 v15, v11, v16, v15
	v_fma_f16 v7, v17, v11, v7
	v_pack_b32_f16 v9, v9, v10
	v_pack_b32_f16 v7, v15, v7
	ds_write_b32 v19, v9 offset:128
	ds_write_b32 v8, v7 offset:704
	ds_read_b32 v7, v19 offset:192
	ds_read_b32 v9, v8 offset:640
	s_waitcnt vmcnt(2)
	v_lshrrev_b32_e32 v10, 16, v12
	s_waitcnt lgkmcnt(0)
	v_add_f16_e32 v11, v7, v9
	v_add_f16_sdwa v15, v9, v7 dst_sel:DWORD dst_unused:UNUSED_PAD src0_sel:WORD_1 src1_sel:WORD_1
	v_sub_f16_e32 v16, v7, v9
	v_sub_f16_sdwa v7, v7, v9 dst_sel:DWORD dst_unused:UNUSED_PAD src0_sel:WORD_1 src1_sel:WORD_1
	;; [unrolled: 21-line block ×3, first 2 shown]
	v_fma_f16 v9, v15, v10, v11
	v_fma_f16 v16, v12, v10, v7
	v_fma_f16 v11, -v15, v10, v11
	v_fma_f16 v7, v12, v10, -v7
	v_fma_f16 v9, -v13, v12, v9
	v_fma_f16 v10, v15, v13, v16
	v_fma_f16 v11, v13, v12, v11
	;; [unrolled: 1-line block ×3, first 2 shown]
	v_pack_b32_f16 v9, v9, v10
	v_pack_b32_f16 v7, v11, v7
	ds_write_b32 v19, v9 offset:256
	ds_write_b32 v8, v7 offset:576
	ds_read_b32 v7, v19 offset:320
	ds_read_b32 v9, v8 offset:512
	s_waitcnt vmcnt(0)
	v_lshrrev_b32_e32 v11, 16, v14
	v_or_b32_e32 v10, 0x60, v6
	v_cmp_gt_u32_e64 s[0:1], s0, v10
	s_waitcnt lgkmcnt(0)
	v_add_f16_e32 v12, v7, v9
	v_add_f16_sdwa v13, v9, v7 dst_sel:DWORD dst_unused:UNUSED_PAD src0_sel:WORD_1 src1_sel:WORD_1
	v_sub_f16_e32 v15, v7, v9
	v_sub_f16_sdwa v7, v7, v9 dst_sel:DWORD dst_unused:UNUSED_PAD src0_sel:WORD_1 src1_sel:WORD_1
	v_fma_f16 v9, v15, v11, v12
	v_fma_f16 v16, v13, v11, v7
	v_fma_f16 v12, -v15, v11, v12
	v_fma_f16 v7, v13, v11, -v7
	v_fma_f16 v9, -v14, v13, v9
	v_fma_f16 v11, v15, v14, v16
	v_fma_f16 v12, v14, v13, v12
	;; [unrolled: 1-line block ×3, first 2 shown]
	v_pack_b32_f16 v9, v9, v11
	v_pack_b32_f16 v7, v12, v7
	ds_write_b32 v19, v9 offset:320
	ds_write_b32 v8, v7 offset:512
	s_and_saveexec_b64 s[2:3], s[0:1]
	s_cbranch_execz .LBB0_19
; %bb.18:
	global_load_dword v0, v[0:1], off offset:384
	ds_read_b32 v1, v19 offset:384
	ds_read_b32 v7, v8 offset:448
	s_waitcnt lgkmcnt(0)
	v_add_f16_e32 v9, v1, v7
	v_add_f16_sdwa v10, v7, v1 dst_sel:DWORD dst_unused:UNUSED_PAD src0_sel:WORD_1 src1_sel:WORD_1
	v_sub_f16_e32 v11, v1, v7
	v_sub_f16_sdwa v1, v1, v7 dst_sel:DWORD dst_unused:UNUSED_PAD src0_sel:WORD_1 src1_sel:WORD_1
	s_waitcnt vmcnt(0)
	v_lshrrev_b32_e32 v7, 16, v0
	v_fma_f16 v12, v11, v7, v9
	v_fma_f16 v13, v10, v7, v1
	v_fma_f16 v9, -v11, v7, v9
	v_fma_f16 v1, v10, v7, -v1
	v_fma_f16 v7, -v0, v10, v12
	v_fma_f16 v12, v11, v0, v13
	v_fma_f16 v9, v0, v10, v9
	;; [unrolled: 1-line block ×3, first 2 shown]
	v_pack_b32_f16 v1, v7, v12
	v_pack_b32_f16 v0, v9, v0
	ds_write_b32 v19, v1 offset:384
	ds_write_b32 v8, v0 offset:448
.LBB0_19:
	s_or_b64 exec, exec, s[2:3]
	v_add3_u32 v7, 0, v3, v2
	s_waitcnt lgkmcnt(0)
	; wave barrier
	s_waitcnt lgkmcnt(0)
	s_waitcnt lgkmcnt(0)
	; wave barrier
	s_waitcnt lgkmcnt(0)
	ds_read2_b32 v[8:9], v7 offset0:48 offset1:64
	ds_read_b32 v16, v19
	ds_read2_b32 v[10:11], v7 offset0:16 offset1:32
	ds_read2_b32 v[0:1], v7 offset0:80 offset1:96
	;; [unrolled: 1-line block ×5, first 2 shown]
	s_waitcnt lgkmcnt(4)
	v_pk_add_f16 v17, v16, v10
	s_mov_b32 s0, 0xb770
	v_pk_add_f16 v17, v17, v11
	s_movk_i32 s1, 0x3b15
	v_pk_add_f16 v17, v17, v8
	s_waitcnt lgkmcnt(0)
	v_pk_add_f16 v28, v10, v15 neg_lo:[0,1] neg_hi:[0,1]
	v_pk_add_f16 v17, v17, v9
	s_mov_b32 s14, 0xba95
	v_pk_add_f16 v17, v17, v0
	v_pk_add_f16 v40, v11, v14 neg_lo:[0,1] neg_hi:[0,1]
	v_pk_add_f16 v17, v17, v1
	s_movk_i32 s2, 0x388b
	v_pk_add_f16 v17, v17, v2
	v_pk_add_f16 v39, v14, v11
	;; [unrolled: 1-line block ×3, first 2 shown]
	v_mul_f16_sdwa v11, v40, s14 dst_sel:DWORD dst_unused:UNUSED_PAD src0_sel:WORD_1 src1_sel:DWORD
	v_pk_add_f16 v17, v17, v12
	v_mul_f16_e32 v22, 0xb770, v28
	v_pk_add_f16 v17, v17, v13
	v_mul_f16_e32 v41, 0xba95, v40
	v_pk_add_f16 v17, v17, v14
	v_fma_f16 v14, v39, s2, -v11
	v_pk_add_f16 v20, v17, v15
	v_pk_add_f16 v17, v15, v10
	v_mul_f16_sdwa v10, v28, s0 dst_sel:DWORD dst_unused:UNUSED_PAD src0_sel:WORD_1 src1_sel:DWORD
	v_fma_f16 v15, v17, s1, -v10
	v_add_f16_e32 v15, v16, v15
	v_lshrrev_b32_e32 v21, 16, v17
	v_fma_f16 v10, v17, s1, v10
	v_fma_f16 v23, v21, s1, v22
	v_add_f16_e32 v10, v16, v10
	v_fma_f16 v22, v21, s1, -v22
	v_add_f16_e32 v14, v14, v15
	v_lshrrev_b32_e32 v15, 16, v39
	v_fma_f16 v11, v39, s2, v11
	v_add_f16_sdwa v22, v16, v22 dst_sel:DWORD dst_unused:UNUSED_PAD src0_sel:WORD_1 src1_sel:DWORD
	v_mul_f16_sdwa v24, v28, s14 dst_sel:DWORD dst_unused:UNUSED_PAD src0_sel:WORD_1 src1_sel:DWORD
	s_mov_b32 s3, 0xbb7b
	v_add_f16_e32 v10, v11, v10
	v_fma_f16 v11, v15, s2, -v41
	v_fma_f16 v25, v17, s2, -v24
	s_mov_b32 s8, 0xb5ac
	v_add_f16_e32 v11, v11, v22
	v_mul_f16_sdwa v22, v40, s3 dst_sel:DWORD dst_unused:UNUSED_PAD src0_sel:WORD_1 src1_sel:DWORD
	v_add_f16_e32 v25, v16, v25
	v_mul_f16_e32 v26, 0xba95, v28
	v_fma_f16 v24, v17, s2, v24
	v_fma_f16 v42, v15, s2, v41
	v_fma_f16 v41, v39, s8, -v22
	v_fma_f16 v27, v21, s2, v26
	v_add_f16_e32 v24, v16, v24
	v_fma_f16 v26, v21, s2, -v26
	s_mov_b32 s15, 0xbbf1
	v_add_f16_e32 v25, v41, v25
	v_mul_f16_e32 v41, 0xbb7b, v40
	v_fma_f16 v22, v39, s8, v22
	v_add_f16_sdwa v26, v16, v26 dst_sel:DWORD dst_unused:UNUSED_PAD src0_sel:WORD_1 src1_sel:DWORD
	v_mul_f16_sdwa v29, v28, s15 dst_sel:DWORD dst_unused:UNUSED_PAD src0_sel:WORD_1 src1_sel:DWORD
	s_movk_i32 s0, 0x2fb7
	v_add_f16_e32 v22, v22, v24
	v_fma_f16 v24, v15, s8, -v41
	s_mov_b32 s11, 0xb3a8
	v_add_f16_sdwa v23, v16, v23 dst_sel:DWORD dst_unused:UNUSED_PAD src0_sel:WORD_1 src1_sel:DWORD
	v_fma_f16 v30, v17, s0, -v29
	v_add_f16_e32 v24, v24, v26
	v_mul_f16_sdwa v26, v40, s11 dst_sel:DWORD dst_unused:UNUSED_PAD src0_sel:WORD_1 src1_sel:DWORD
	s_mov_b32 s12, 0xbbc4
	v_add_f16_e32 v30, v16, v30
	v_mul_f16_e32 v31, 0xbbf1, v28
	v_fma_f16 v29, v17, s0, v29
	v_add_f16_e32 v23, v42, v23
	v_fma_f16 v42, v15, s8, v41
	v_fma_f16 v41, v39, s12, -v26
	v_fma_f16 v32, v21, s0, v31
	v_add_f16_e32 v29, v16, v29
	v_fma_f16 v31, v21, s0, -v31
	v_add_f16_e32 v30, v41, v30
	v_mul_f16_e32 v41, 0xb3a8, v40
	v_fma_f16 v26, v39, s12, v26
	v_add_f16_sdwa v27, v16, v27 dst_sel:DWORD dst_unused:UNUSED_PAD src0_sel:WORD_1 src1_sel:DWORD
	v_add_f16_sdwa v31, v16, v31 dst_sel:DWORD dst_unused:UNUSED_PAD src0_sel:WORD_1 src1_sel:DWORD
	v_mul_f16_sdwa v33, v28, s3 dst_sel:DWORD dst_unused:UNUSED_PAD src0_sel:WORD_1 src1_sel:DWORD
	v_add_f16_e32 v26, v26, v29
	v_fma_f16 v29, v15, s12, -v41
	s_movk_i32 s16, 0x394e
	v_add_f16_sdwa v32, v16, v32 dst_sel:DWORD dst_unused:UNUSED_PAD src0_sel:WORD_1 src1_sel:DWORD
	v_fma_f16 v34, v17, s8, -v33
	v_mul_f16_e32 v35, 0xbb7b, v28
	s_mov_b32 s10, 0xb9fd
	v_add_f16_e32 v27, v42, v27
	v_fma_f16 v42, v15, s12, v41
	v_add_f16_e32 v29, v29, v31
	v_mul_f16_sdwa v31, v40, s16 dst_sel:DWORD dst_unused:UNUSED_PAD src0_sel:WORD_1 src1_sel:DWORD
	v_add_f16_e32 v34, v16, v34
	v_fma_f16 v36, v21, s8, v35
	v_fma_f16 v21, v21, s8, -v35
	s_mov_b32 s9, 0xb94e
	v_add_f16_e32 v32, v42, v32
	v_fma_f16 v41, v39, s10, -v31
	v_mul_f16_e32 v42, 0x394e, v40
	v_fma_f16 v33, v17, s8, v33
	v_add_f16_sdwa v21, v16, v21 dst_sel:DWORD dst_unused:UNUSED_PAD src0_sel:WORD_1 src1_sel:DWORD
	v_pk_mul_f16 v35, v28, s9 op_sel_hi:[1,0]
	v_add_f16_e32 v34, v41, v34
	v_mul_f16_e32 v41, 0xb9fd, v15
	v_fma_f16 v15, v15, s10, -v42
	s_movk_i32 s13, 0x3bf1
	v_add_f16_e32 v33, v16, v33
	v_pk_fma_f16 v37, v17, s10, v35 op_sel:[0,0,1] op_sel_hi:[1,0,0] neg_lo:[0,0,1] neg_hi:[0,0,1]
	v_pk_fma_f16 v35, v17, s10, v35 op_sel:[0,0,1] op_sel_hi:[1,0,0]
	s_mov_b32 s7, 0xffff
	v_fma_f16 v31, v39, s10, v31
	v_add_f16_e32 v15, v15, v21
	v_pk_mul_f16 v21, v40, s13 op_sel_hi:[1,0]
	v_bfi_b32 v38, s7, v35, v37
	v_add_f16_e32 v31, v31, v33
	v_pk_fma_f16 v33, v39, s0, v21 op_sel:[0,0,1] op_sel_hi:[1,0,0] neg_lo:[0,0,1] neg_hi:[0,0,1]
	v_pk_fma_f16 v43, v39, s0, v21 op_sel:[0,0,1] op_sel_hi:[1,0,0]
	v_pk_add_f16 v38, v16, v38
	v_bfi_b32 v21, s7, v43, v33
	v_pk_add_f16 v44, v8, v13 neg_lo:[0,1] neg_hi:[0,1]
	v_pk_add_f16 v21, v21, v38
	v_pk_add_f16 v38, v13, v8
	v_mul_f16_sdwa v8, v44, s15 dst_sel:DWORD dst_unused:UNUSED_PAD src0_sel:WORD_1 src1_sel:DWORD
	v_fma_f16 v13, v38, s0, -v8
	v_add_f16_e32 v13, v13, v14
	v_lshrrev_b32_e32 v14, 16, v38
	v_mul_f16_e32 v45, 0xbbf1, v44
	v_fma_f16 v8, v38, s0, v8
	v_add_f16_e32 v8, v8, v10
	v_fma_f16 v10, v14, s0, -v45
	v_add_f16_e32 v10, v10, v11
	v_mul_f16_sdwa v11, v44, s11 dst_sel:DWORD dst_unused:UNUSED_PAD src0_sel:WORD_1 src1_sel:DWORD
	v_fma_f16 v46, v14, s0, v45
	v_fma_f16 v45, v38, s12, -v11
	v_add_f16_e32 v25, v45, v25
	v_mul_f16_e32 v45, 0xb3a8, v44
	v_fma_f16 v11, v38, s12, v11
	v_add_f16_e32 v11, v11, v22
	v_fma_f16 v22, v14, s12, -v45
	s_movk_i32 s17, 0x3b7b
	v_add_f16_e32 v22, v22, v24
	v_mul_f16_sdwa v24, v44, s17 dst_sel:DWORD dst_unused:UNUSED_PAD src0_sel:WORD_1 src1_sel:DWORD
	v_add_f16_e32 v23, v46, v23
	v_fma_f16 v46, v14, s12, v45
	v_fma_f16 v45, v38, s8, -v24
	v_add_f16_e32 v30, v45, v30
	v_mul_f16_e32 v45, 0x3b7b, v44
	v_fma_f16 v24, v38, s8, v24
	v_add_f16_e32 v24, v24, v26
	v_fma_f16 v26, v14, s8, -v45
	s_movk_i32 s17, 0x3770
	v_add_f16_e32 v26, v26, v29
	v_mul_f16_sdwa v29, v44, s17 dst_sel:DWORD dst_unused:UNUSED_PAD src0_sel:WORD_1 src1_sel:DWORD
	v_add_f16_e32 v27, v46, v27
	v_fma_f16 v46, v14, s8, v45
	v_fma_f16 v45, v38, s1, -v29
	v_add_f16_e32 v34, v45, v34
	v_mul_f16_e32 v45, 0x3770, v44
	v_add_f16_e32 v32, v46, v32
	v_fma_f16 v46, v14, s1, v45
	v_fma_f16 v14, v14, s1, -v45
	v_fma_f16 v29, v38, s1, v29
	v_add_f16_e32 v14, v14, v15
	v_pk_mul_f16 v15, v44, s14 op_sel_hi:[1,0]
	v_pk_add_f16 v48, v9, v12 neg_lo:[0,1] neg_hi:[0,1]
	v_add_f16_e32 v29, v29, v31
	v_pk_fma_f16 v31, v38, s2, v15 op_sel:[0,0,1] op_sel_hi:[1,0,0] neg_lo:[0,0,1] neg_hi:[0,0,1]
	v_pk_fma_f16 v45, v38, s2, v15 op_sel:[0,0,1] op_sel_hi:[1,0,0]
	v_pk_add_f16 v47, v12, v9
	v_mul_f16_sdwa v9, v48, s3 dst_sel:DWORD dst_unused:UNUSED_PAD src0_sel:WORD_1 src1_sel:DWORD
	v_bfi_b32 v15, s7, v45, v31
	v_fma_f16 v12, v47, s8, -v9
	v_pk_add_f16 v15, v15, v21
	v_add_f16_e32 v12, v12, v13
	v_lshrrev_b32_e32 v13, 16, v47
	v_mul_f16_e32 v21, 0xbb7b, v48
	v_fma_f16 v9, v47, s8, v9
	v_add_f16_e32 v8, v9, v8
	v_fma_f16 v9, v13, s8, -v21
	v_add_f16_e32 v9, v9, v10
	v_mul_f16_sdwa v10, v48, s16 dst_sel:DWORD dst_unused:UNUSED_PAD src0_sel:WORD_1 src1_sel:DWORD
	v_fma_f16 v49, v13, s8, v21
	v_fma_f16 v21, v47, s10, -v10
	v_add_f16_e32 v21, v21, v25
	v_mul_f16_e32 v25, 0x394e, v48
	v_fma_f16 v10, v47, s10, v10
	v_add_f16_e32 v10, v10, v11
	v_fma_f16 v11, v13, s10, -v25
	v_add_f16_e32 v11, v11, v22
	v_mul_f16_sdwa v22, v48, s17 dst_sel:DWORD dst_unused:UNUSED_PAD src0_sel:WORD_1 src1_sel:DWORD
	v_add_f16_e32 v23, v49, v23
	v_fma_f16 v49, v13, s10, v25
	v_fma_f16 v25, v47, s1, -v22
	v_add_f16_e32 v25, v25, v30
	v_mul_f16_e32 v30, 0x3770, v48
	v_fma_f16 v22, v47, s1, v22
	v_add_f16_e32 v22, v22, v24
	v_fma_f16 v24, v13, s1, -v30
	v_add_f16_e32 v24, v24, v26
	v_mul_f16_sdwa v26, v48, s15 dst_sel:DWORD dst_unused:UNUSED_PAD src0_sel:WORD_1 src1_sel:DWORD
	v_add_f16_e32 v27, v49, v27
	v_fma_f16 v49, v13, s1, v30
	v_fma_f16 v30, v47, s0, -v26
	v_add_f16_e32 v30, v30, v34
	v_mul_f16_e32 v34, 0xbbf1, v48
	v_add_f16_e32 v32, v49, v32
	v_fma_f16 v49, v13, s0, v34
	v_fma_f16 v13, v13, s0, -v34
	s_movk_i32 s15, 0x33a8
	v_fma_f16 v26, v47, s0, v26
	v_add_f16_e32 v13, v13, v14
	v_pk_mul_f16 v14, v48, s15 op_sel_hi:[1,0]
	v_pk_add_f16 v51, v0, v3 neg_lo:[0,1] neg_hi:[0,1]
	v_add_f16_e32 v26, v26, v29
	v_pk_fma_f16 v29, v47, s12, v14 op_sel:[0,0,1] op_sel_hi:[1,0,0] neg_lo:[0,0,1] neg_hi:[0,0,1]
	v_pk_fma_f16 v34, v47, s12, v14 op_sel:[0,0,1] op_sel_hi:[1,0,0]
	v_pk_add_f16 v50, v3, v0
	v_mul_f16_sdwa v0, v51, s9 dst_sel:DWORD dst_unused:UNUSED_PAD src0_sel:WORD_1 src1_sel:DWORD
	v_bfi_b32 v14, s7, v34, v29
	v_fma_f16 v3, v50, s10, -v0
	v_pk_add_f16 v14, v14, v15
	v_add_f16_e32 v3, v3, v12
	v_lshrrev_b32_e32 v12, 16, v50
	v_mul_f16_e32 v15, 0xb94e, v51
	v_fma_f16 v0, v50, s10, v0
	v_add_f16_e32 v0, v0, v8
	v_fma_f16 v8, v12, s10, -v15
	v_add_f16_e32 v8, v8, v9
	v_mul_f16_sdwa v9, v51, s13 dst_sel:DWORD dst_unused:UNUSED_PAD src0_sel:WORD_1 src1_sel:DWORD
	v_fma_f16 v52, v12, s10, v15
	v_fma_f16 v15, v50, s0, -v9
	v_add_f16_e32 v15, v15, v21
	v_mul_f16_e32 v21, 0x3bf1, v51
	v_fma_f16 v9, v50, s0, v9
	v_add_f16_e32 v10, v9, v10
	v_fma_f16 v9, v12, s0, -v21
	v_add_f16_e32 v11, v9, v11
	v_mul_f16_sdwa v9, v51, s14 dst_sel:DWORD dst_unused:UNUSED_PAD src0_sel:WORD_1 src1_sel:DWORD
	v_add_f16_e32 v23, v52, v23
	v_fma_f16 v52, v12, s0, v21
	v_fma_f16 v21, v50, s2, -v9
	v_add_f16_e32 v25, v21, v25
	v_mul_f16_e32 v21, 0xba95, v51
	v_fma_f16 v9, v50, s2, v9
	v_add_f16_e32 v27, v52, v27
	v_fma_f16 v52, v12, s2, v21
	v_add_f16_e32 v22, v9, v22
	v_fma_f16 v9, v12, s2, -v21
	v_add_f16_e32 v32, v52, v32
	v_add_f16_e32 v52, v9, v24
	v_mul_f16_sdwa v9, v51, s15 dst_sel:DWORD dst_unused:UNUSED_PAD src0_sel:WORD_1 src1_sel:DWORD
	v_fma_f16 v21, v50, s12, -v9
	v_add_f16_e32 v30, v21, v30
	v_mul_f16_e32 v21, 0x33a8, v51
	v_fma_f16 v9, v50, s12, v9
	v_add_f16_e32 v54, v9, v26
	v_fma_f16 v9, v12, s12, -v21
	v_add_f16_e32 v55, v9, v13
	v_pk_mul_f16 v9, v51, s17 op_sel_hi:[1,0]
	v_pk_add_f16 v59, v2, v1
	v_pk_fma_f16 v56, v50, s1, v9 op_sel:[0,0,1] op_sel_hi:[1,0,0] neg_lo:[0,0,1] neg_hi:[0,0,1]
	v_pk_fma_f16 v57, v50, s1, v9 op_sel:[0,0,1] op_sel_hi:[1,0,0]
	v_pk_add_f16 v1, v1, v2 neg_lo:[0,1] neg_hi:[0,1]
	v_bfi_b32 v9, s7, v57, v56
	v_mul_f16_sdwa v2, v1, s11 dst_sel:DWORD dst_unused:UNUSED_PAD src0_sel:WORD_1 src1_sel:DWORD
	v_pk_add_f16 v58, v9, v14
	v_fma_f16 v9, v59, s12, -v2
	v_fma_f16 v53, v12, s12, v21
	v_add_f16_e32 v14, v9, v3
	v_lshrrev_b32_e32 v3, 16, v59
	v_mul_f16_e32 v12, 0xb3a8, v1
	v_fma_f16 v9, v3, s12, v12
	v_fma_f16 v2, v59, s12, v2
	v_add_f16_e32 v23, v9, v23
	v_add_f16_e32 v9, v2, v0
	v_fma_f16 v0, v3, s12, -v12
	v_add_f16_e32 v21, v0, v8
	v_mul_f16_sdwa v0, v1, s17 dst_sel:DWORD dst_unused:UNUSED_PAD src0_sel:WORD_1 src1_sel:DWORD
	v_fma_f16 v2, v59, s1, -v0
	v_add_f16_e32 v15, v2, v15
	v_mul_f16_e32 v2, 0x3770, v1
	v_fma_f16 v8, v3, s1, v2
	v_fma_f16 v0, v59, s1, v0
	v_add_f16_e32 v27, v8, v27
	v_add_f16_e32 v8, v0, v10
	v_fma_f16 v0, v3, s1, -v2
	v_add_f16_e32 v24, v0, v11
	v_mul_f16_sdwa v0, v1, s9 dst_sel:DWORD dst_unused:UNUSED_PAD src0_sel:WORD_1 src1_sel:DWORD
	v_fma_f16 v2, v59, s10, -v0
	v_add_f16_e32 v12, v2, v25
	v_mul_f16_e32 v2, 0xb94e, v1
	v_fma_f16 v0, v59, s10, v0
	v_add_f16_e32 v11, v0, v22
	v_fma_f16 v0, v3, s10, -v2
	s_movk_i32 s14, 0x3a95
	v_add_f16_e32 v25, v0, v52
	v_mul_f16_sdwa v0, v1, s14 dst_sel:DWORD dst_unused:UNUSED_PAD src0_sel:WORD_1 src1_sel:DWORD
	v_fma_f16 v10, v3, s10, v2
	v_fma_f16 v2, v59, s2, -v0
	v_add_f16_e32 v13, v2, v30
	v_mul_f16_e32 v2, 0x3a95, v1
	v_fma_f16 v0, v59, s2, v0
	v_add_f16_e32 v26, v10, v32
	v_add_f16_e32 v10, v0, v54
	v_fma_f16 v0, v3, s2, -v2
	v_add_f16_sdwa v36, v16, v36 dst_sel:DWORD dst_unused:UNUSED_PAD src0_sel:WORD_1 src1_sel:DWORD
	v_add_f16_e32 v22, v0, v55
	v_perm_b32 v0, v16, v42, s6
	v_pack_b32_f16 v32, v41, v37
	v_pk_add_f16 v0, v0, v32
	v_pack_b32_f16 v32, v36, v33
	v_pk_add_f16 v0, v32, v0
	v_pack_b32_f16 v31, v46, v31
	v_fma_f16 v30, v3, s2, v2
	v_pk_mul_f16 v2, v1, s3 op_sel_hi:[1,0]
	v_pk_add_f16 v0, v31, v0
	v_pack_b32_f16 v29, v49, v29
	v_pk_fma_f16 v3, v59, s8, v2 op_sel:[0,0,1] op_sel_hi:[1,0,0] neg_lo:[0,0,1] neg_hi:[0,0,1]
	v_pk_add_f16 v0, v29, v0
	v_pack_b32_f16 v29, v53, v56
	v_pk_mul_f16 v28, v28, s11 op_sel_hi:[1,0]
	v_pk_add_f16 v0, v29, v0
	v_pack_b32_f16 v29, v30, v3
	v_pk_fma_f16 v30, v17, s12, v28 op_sel:[0,0,1] op_sel_hi:[1,0,0] neg_lo:[0,0,1] neg_hi:[0,0,1]
	v_pk_fma_f16 v17, v17, s12, v28 op_sel:[0,0,1] op_sel_hi:[1,0,0]
	v_pk_mul_f16 v28, v40, s17 op_sel_hi:[1,0]
	v_pk_add_f16 v17, v16, v17
	v_pk_fma_f16 v31, v39, s1, v28 op_sel:[0,0,1] op_sel_hi:[1,0,0] neg_lo:[0,0,1] neg_hi:[0,0,1]
	v_pk_fma_f16 v28, v39, s1, v28 op_sel:[0,0,1] op_sel_hi:[1,0,0]
	v_pk_add_f16 v0, v29, v0
	v_pk_add_f16 v17, v28, v17
	v_pk_mul_f16 v28, v44, s9 op_sel_hi:[1,0]
	v_bfi_b32 v29, s7, v31, v43
	v_pk_fma_f16 v32, v38, s10, v28 op_sel:[0,0,1] op_sel_hi:[1,0,0] neg_lo:[0,0,1] neg_hi:[0,0,1]
	v_pk_fma_f16 v28, v38, s10, v28 op_sel:[0,0,1] op_sel_hi:[1,0,0]
	v_pk_mul_f16 v1, v1, s13 op_sel_hi:[1,0]
	v_pk_add_f16 v17, v28, v17
	v_pk_mul_f16 v28, v48, s14 op_sel_hi:[1,0]
	v_pk_fma_f16 v2, v59, s8, v2 op_sel:[0,0,1] op_sel_hi:[1,0,0]
	v_pk_fma_f16 v33, v47, s2, v28 op_sel:[0,0,1] op_sel_hi:[1,0,0] neg_lo:[0,0,1] neg_hi:[0,0,1]
	v_pk_fma_f16 v28, v47, s2, v28 op_sel:[0,0,1] op_sel_hi:[1,0,0]
	v_pk_fma_f16 v37, v59, s0, v1 op_sel:[0,0,1] op_sel_hi:[1,0,0] neg_lo:[0,0,1] neg_hi:[0,0,1]
	v_pk_add_f16 v17, v28, v17
	v_pk_mul_f16 v28, v51, s3 op_sel_hi:[1,0]
	v_bfi_b32 v3, s7, v2, v3
	v_pk_fma_f16 v36, v50, s8, v28 op_sel:[0,0,1] op_sel_hi:[1,0,0] neg_lo:[0,0,1] neg_hi:[0,0,1]
	v_pk_fma_f16 v28, v50, s8, v28 op_sel:[0,0,1] op_sel_hi:[1,0,0]
	v_bfi_b32 v2, s7, v37, v2
	v_pk_add_f16 v17, v28, v17
	v_bfi_b32 v28, s7, v30, v35
	v_pk_add_f16 v28, v16, v28
	v_pk_fma_f16 v1, v59, s0, v1 op_sel:[0,0,1] op_sel_hi:[1,0,0]
	v_pk_add_f16 v28, v29, v28
	v_bfi_b32 v29, s7, v32, v45
	v_pk_add_f16 v28, v29, v28
	v_bfi_b32 v29, s7, v33, v34
	;; [unrolled: 2-line block ×3, first 2 shown]
	v_pk_add_f16 v28, v29, v28
	s_nop 0
	v_pk_add_f16 v29, v2, v28
	v_pk_add_f16 v28, v1, v17
	v_add_f16_sdwa v1, v16, v30 dst_sel:DWORD dst_unused:UNUSED_PAD src0_sel:WORD_1 src1_sel:WORD_1
	v_add_f16_sdwa v1, v31, v1 dst_sel:DWORD dst_unused:UNUSED_PAD src0_sel:WORD_1 src1_sel:DWORD
	v_add_f16_sdwa v1, v32, v1 dst_sel:DWORD dst_unused:UNUSED_PAD src0_sel:WORD_1 src1_sel:DWORD
	;; [unrolled: 1-line block ×5, first 2 shown]
	v_mad_u32_u24 v16, v6, 48, v7
	v_pack_b32_f16 v1, v14, v23
	; wave barrier
	ds_write2_b32 v16, v20, v1 offset1:1
	v_pack_b32_f16 v1, v12, v26
	v_pack_b32_f16 v2, v15, v27
	v_pk_add_f16 v3, v3, v58
	ds_write2_b32 v16, v2, v1 offset0:2 offset1:3
	ds_write_b16 v16, v13 offset:16
	v_alignbit_b32 v1, v29, v29, 16
	v_alignbit_b32 v2, v28, v28, 16
	ds_write_b96 v16, v[0:2] offset:18
	v_pack_b32_f16 v35, v25, v8
	v_pack_b32_f16 v34, v22, v11
	v_alignbit_b32 v33, v10, v3, 16
	v_pack_b32_f16 v32, v30, v3
	v_pack_b32_f16 v1, v9, v21
	v_cmp_gt_u32_e64 s[0:1], 13, v6
	ds_write_b128 v16, v[32:35] offset:30
	ds_write_b16 v16, v24 offset:46
	ds_write_b32 v16, v1 offset:48
	s_waitcnt lgkmcnt(0)
	; wave barrier
	s_waitcnt lgkmcnt(0)
                                        ; implicit-def: $vgpr31
                                        ; implicit-def: $vgpr16
                                        ; implicit-def: $vgpr33
                                        ; implicit-def: $vgpr32
                                        ; implicit-def: $vgpr1
	s_and_saveexec_b64 s[2:3], s[0:1]
	s_cbranch_execz .LBB0_21
; %bb.20:
	ds_read2_b32 v[10:11], v7 offset0:117 offset1:130
	ds_read2_b32 v[14:15], v7 offset0:13 offset1:26
	;; [unrolled: 1-line block ×7, first 2 shown]
	ds_read_b32 v20, v19
	ds_read_b32 v1, v7 offset:780
	s_waitcnt lgkmcnt(8)
	v_lshrrev_b32_e32 v22, 16, v10
	v_lshrrev_b32_e32 v25, 16, v11
	s_waitcnt lgkmcnt(2)
	v_lshrrev_b32_e32 v31, 16, v16
	v_lshrrev_b32_e32 v24, 16, v8
	;; [unrolled: 1-line block ×4, first 2 shown]
	s_waitcnt lgkmcnt(0)
	v_lshrrev_b32_e32 v32, 16, v1
	v_lshrrev_b32_e32 v23, 16, v14
	;; [unrolled: 1-line block ×4, first 2 shown]
	v_alignbit_b32 v0, v34, v13, 16
	v_bfi_b32 v29, s7, v35, v34
	v_bfi_b32 v28, s7, v2, v35
	v_lshrrev_b32_e32 v30, 16, v2
.LBB0_21:
	s_or_b64 exec, exec, s[2:3]
	s_waitcnt lgkmcnt(0)
	; wave barrier
	s_waitcnt lgkmcnt(0)
	s_and_saveexec_b64 s[2:3], s[0:1]
	s_cbranch_execz .LBB0_23
; %bb.22:
	v_add_u32_e32 v2, -13, v6
	v_cndmask_b32_e64 v2, v2, v6, s[0:1]
	v_mul_i32_i24_e32 v34, 15, v2
	v_mov_b32_e32 v35, 0
	v_lshl_add_u64 v[50:51], v[34:35], 2, s[4:5]
	global_load_dwordx4 v[34:37], v[50:51], off offset:16
	global_load_dwordx4 v[38:41], v[50:51], off
	global_load_dwordx4 v[42:45], v[50:51], off offset:32
	global_load_dwordx3 v[46:48], v[50:51], off offset:48
	v_lshrrev_b32_e32 v2, 16, v3
	v_lshrrev_b32_e32 v49, 16, v28
	;; [unrolled: 1-line block ×4, first 2 shown]
	s_movk_i32 s0, 0x39a8
	s_mov_b32 s1, 0xb9a8
	s_mov_b32 s4, 0xb61f
	;; [unrolled: 1-line block ×3, first 2 shown]
	s_movk_i32 s6, 0x3b64
	s_movk_i32 s7, 0x361f
	s_waitcnt vmcnt(3)
	v_mul_f16_sdwa v52, v2, v37 dst_sel:DWORD dst_unused:UNUSED_PAD src0_sel:DWORD src1_sel:WORD_1
	s_waitcnt vmcnt(2)
	v_mul_f16_sdwa v53, v13, v41 dst_sel:DWORD dst_unused:UNUSED_PAD src0_sel:DWORD src1_sel:WORD_1
	;; [unrolled: 2-line block ×4, first 2 shown]
	v_mul_f16_sdwa v58, v31, v46 dst_sel:DWORD dst_unused:UNUSED_PAD src0_sel:DWORD src1_sel:WORD_1
	v_mul_f16_sdwa v56, v17, v47 dst_sel:DWORD dst_unused:UNUSED_PAD src0_sel:DWORD src1_sel:WORD_1
	v_fma_f16 v17, v17, v47, -v57
	v_fma_f16 v57, v16, v46, -v58
	v_mul_f16_sdwa v16, v16, v46 dst_sel:DWORD dst_unused:UNUSED_PAD src0_sel:DWORD src1_sel:WORD_1
	v_fma_f16 v16, v31, v46, v16
	v_mul_f16_sdwa v31, v1, v48 dst_sel:DWORD dst_unused:UNUSED_PAD src0_sel:DWORD src1_sel:WORD_1
	v_fma_f16 v31, v32, v48, v31
	v_mul_f16_sdwa v32, v32, v48 dst_sel:DWORD dst_unused:UNUSED_PAD src0_sel:DWORD src1_sel:WORD_1
	v_mul_f16_sdwa v58, v25, v43 dst_sel:DWORD dst_unused:UNUSED_PAD src0_sel:DWORD src1_sel:WORD_1
	v_fma_f16 v1, v1, v48, -v32
	v_mul_f16_sdwa v32, v15, v39 dst_sel:DWORD dst_unused:UNUSED_PAD src0_sel:DWORD src1_sel:WORD_1
	v_mul_f16_sdwa v46, v11, v43 dst_sel:DWORD dst_unused:UNUSED_PAD src0_sel:DWORD src1_sel:WORD_1
	;; [unrolled: 1-line block ×4, first 2 shown]
	v_fma_f16 v33, v33, v47, v56
	v_mul_f16_sdwa v47, v29, v35 dst_sel:DWORD dst_unused:UNUSED_PAD src0_sel:DWORD src1_sel:WORD_1
	v_mul_f16_sdwa v48, v49, v35 dst_sel:DWORD dst_unused:UNUSED_PAD src0_sel:DWORD src1_sel:WORD_1
	;; [unrolled: 1-line block ×3, first 2 shown]
	v_fma_f16 v27, v27, v39, v32
	v_mul_f16_sdwa v32, v28, v36 dst_sel:DWORD dst_unused:UNUSED_PAD src0_sel:DWORD src1_sel:WORD_1
	v_fma_f16 v25, v25, v43, v46
	v_fma_f16 v11, v11, v43, -v58
	v_fma_f16 v43, v10, v42, -v59
	v_mul_f16_sdwa v10, v10, v42 dst_sel:DWORD dst_unused:UNUSED_PAD src0_sel:DWORD src1_sel:WORD_1
	v_fma_f16 v53, v0, v41, v53
	v_mul_f16_sdwa v0, v0, v41 dst_sel:DWORD dst_unused:UNUSED_PAD src0_sel:DWORD src1_sel:WORD_1
	v_fma_f16 v15, v15, v39, -v55
	v_fma_f16 v55, v14, v38, -v56
	v_mul_f16_sdwa v14, v14, v38 dst_sel:DWORD dst_unused:UNUSED_PAD src0_sel:DWORD src1_sel:WORD_1
	v_fma_f16 v47, v49, v35, v47
	v_mul_f16_sdwa v39, v12, v40 dst_sel:DWORD dst_unused:UNUSED_PAD src0_sel:DWORD src1_sel:WORD_1
	v_fma_f16 v29, v29, v35, -v48
	v_mul_f16_sdwa v35, v8, v44 dst_sel:DWORD dst_unused:UNUSED_PAD src0_sel:DWORD src1_sel:WORD_1
	v_fma_f16 v32, v30, v36, v32
	v_mul_f16_sdwa v30, v30, v36 dst_sel:DWORD dst_unused:UNUSED_PAD src0_sel:DWORD src1_sel:WORD_1
	v_fma_f16 v46, v3, v37, -v52
	v_fma_f16 v48, v21, v45, v54
	v_fma_f16 v10, v22, v42, v10
	v_mul_f16_sdwa v22, v51, v34 dst_sel:DWORD dst_unused:UNUSED_PAD src0_sel:DWORD src1_sel:WORD_1
	v_mul_f16_sdwa v3, v3, v37 dst_sel:DWORD dst_unused:UNUSED_PAD src0_sel:DWORD src1_sel:WORD_1
	;; [unrolled: 1-line block ×6, first 2 shown]
	v_fma_f16 v26, v26, v40, v39
	v_fma_f16 v24, v24, v44, v35
	v_fma_f16 v28, v28, v36, -v30
	v_fma_f16 v14, v23, v38, v14
	v_fma_f16 v0, v13, v41, -v0
	v_fma_f16 v22, v50, v34, -v22
	v_fma_f16 v2, v2, v37, v3
	v_lshrrev_b32_e32 v3, 16, v20
	v_fma_f16 v9, v9, v45, -v21
	v_fma_f16 v52, v51, v34, v60
	v_fma_f16 v12, v12, v40, -v56
	v_fma_f16 v8, v8, v44, -v49
	v_sub_f16_e32 v13, v20, v46
	v_sub_f16_e32 v23, v53, v48
	;; [unrolled: 1-line block ×18, first 2 shown]
	v_add_f16_e32 v38, v25, v17
	v_add_f16_e32 v41, v24, v1
	;; [unrolled: 1-line block ×4, first 2 shown]
	v_sub_f16_e32 v39, v33, v16
	v_sub_f16_e32 v40, v8, v31
	v_fma_f16 v43, v36, s0, v35
	v_fma_f16 v50, v41, s0, v42
	;; [unrolled: 1-line block ×8, first 2 shown]
	v_fma_f16 v46, v35, 2.0, -v43
	v_fma_f16 v51, v42, 2.0, -v50
	;; [unrolled: 1-line block ×25, first 2 shown]
	v_sub_f16_e32 v0, v13, v0
	v_sub_f16_e32 v20, v9, v20
	;; [unrolled: 1-line block ×8, first 2 shown]
	v_fma_f16 v48, v39, 2.0, -v44
	v_fma_f16 v38, v25, 2.0, -v38
	v_sub_f16_e32 v25, v0, v20
	v_sub_f16_e32 v30, v22, v26
	v_add_f16_e32 v12, v14, v1
	v_add_f16_e32 v17, v3, v15
	v_fma_f16 v49, v48, s4, v46
	v_fma_f16 v31, v30, s0, v25
	;; [unrolled: 1-line block ×5, first 2 shown]
	v_fma_f16 v39, v33, 2.0, -v39
	v_fma_f16 v16, v12, s1, v31
	v_fma_f16 v23, v30, s0, v23
	v_fma_f16 v31, v0, 2.0, -v25
	v_fma_f16 v30, v22, 2.0, -v30
	v_fma_f16 v48, v48, s6, v51
	v_fma_f16 v51, v36, s1, v35
	;; [unrolled: 1-line block ×4, first 2 shown]
	v_fma_f16 v12, v14, 2.0, -v12
	v_fma_f16 v33, v3, 2.0, -v17
	;; [unrolled: 1-line block ×6, first 2 shown]
	v_fma_f16 v51, v38, s1, v51
	v_fma_f16 v54, v41, s1, v54
	;; [unrolled: 1-line block ×6, first 2 shown]
	v_fma_f16 v0, v13, 2.0, -v0
	v_fma_f16 v11, v11, 2.0, -v15
	;; [unrolled: 1-line block ×4, first 2 shown]
	v_sub_f16_e32 v3, v2, v3
	v_sub_f16_e32 v1, v9, v1
	v_fma_f16 v40, v40, s0, v41
	v_fma_f16 v36, v36, s0, v38
	;; [unrolled: 1-line block ×3, first 2 shown]
	v_sub_f16_e32 v11, v0, v11
	v_sub_f16_e32 v13, v10, v13
	v_add_f16_e32 v8, v3, v1
	v_fma_f16 v26, v35, 2.0, -v51
	v_fma_f16 v27, v39, 2.0, -v54
	;; [unrolled: 1-line block ×5, first 2 shown]
	v_fma_f16 v31, v27, s5, v26
	v_fma_f16 v33, v42, 2.0, -v40
	v_fma_f16 v21, v21, 2.0, -v36
	;; [unrolled: 1-line block ×6, first 2 shown]
	v_fma_f16 v31, v33, s4, v31
	v_fma_f16 v33, v33, s5, v21
	v_sub_f16_e32 v1, v0, v1
	v_sub_f16_e32 v3, v2, v3
	v_fma_f16 v56, v54, s7, v51
	v_fma_f16 v27, v27, s7, v33
	v_fma_f16 v0, v0, 2.0, -v1
	v_fma_f16 v2, v2, 2.0, -v3
	v_fma_f16 v41, v40, s5, v56
	v_fma_f16 v38, v40, s7, v36
	;; [unrolled: 1-line block ×3, first 2 shown]
	v_sub_f16_e32 v14, v11, v13
	v_fma_f16 v26, v26, 2.0, -v31
	v_fma_f16 v21, v21, 2.0, -v27
	v_pack_b32_f16 v0, v0, v2
	v_fma_f16 v38, v54, s6, v38
	v_fma_f16 v56, v50, s4, v56
	;; [unrolled: 1-line block ×3, first 2 shown]
	v_fma_f16 v30, v46, 2.0, -v49
	v_fma_f16 v34, v45, 2.0, -v48
	v_fma_f16 v22, v11, 2.0, -v14
	ds_write_b32 v19, v0
	v_pack_b32_f16 v0, v26, v21
	v_pack_b32_f16 v2, v15, v20
	v_fma_f16 v44, v44, s7, v50
	v_fma_f16 v28, v51, 2.0, -v41
	v_fma_f16 v29, v36, 2.0, -v38
	;; [unrolled: 1-line block ×4, first 2 shown]
	ds_write2_b32 v7, v0, v2 offset0:13 offset1:26
	v_pack_b32_f16 v0, v30, v34
	v_pack_b32_f16 v2, v22, v24
	v_fma_f16 v43, v43, 2.0, -v56
	v_fma_f16 v37, v37, 2.0, -v44
	ds_write2_b32 v7, v0, v2 offset0:39 offset1:52
	v_pack_b32_f16 v0, v28, v29
	v_pack_b32_f16 v2, v9, v10
	ds_write2_b32 v7, v0, v2 offset0:65 offset1:78
	v_pack_b32_f16 v0, v43, v37
	v_pack_b32_f16 v1, v1, v3
	;; [unrolled: 3-line block ×5, first 2 shown]
	ds_write2_b32 v7, v0, v1 offset0:169 offset1:182
	v_pack_b32_f16 v0, v56, v44
	ds_write_b32 v7, v0 offset:780
.LBB0_23:
	s_or_b64 exec, exec, s[2:3]
	s_waitcnt lgkmcnt(0)
	; wave barrier
	s_waitcnt lgkmcnt(0)
	s_and_saveexec_b64 s[0:1], vcc
	s_cbranch_execz .LBB0_25
; %bb.24:
	v_lshl_add_u32 v10, v6, 2, v18
	ds_read2_b32 v[0:1], v10 offset1:16
	v_mov_b32_e32 v7, 0
	v_lshl_add_u64 v[8:9], v[6:7], 2, v[4:5]
	v_add_u32_e32 v2, 16, v6
	v_mov_b32_e32 v3, v7
	s_waitcnt lgkmcnt(0)
	global_store_dword v[8:9], v0, off
	ds_read2_b32 v[8:9], v10 offset0:32 offset1:48
	v_lshl_add_u64 v[2:3], v[2:3], 2, v[4:5]
	global_store_dword v[2:3], v1, off
	v_add_u32_e32 v0, 32, v6
	v_mov_b32_e32 v1, v7
	v_lshl_add_u64 v[0:1], v[0:1], 2, v[4:5]
	ds_read2_b32 v[2:3], v10 offset0:64 offset1:80
	s_waitcnt lgkmcnt(1)
	global_store_dword v[0:1], v8, off
	v_add_u32_e32 v0, 48, v6
	v_mov_b32_e32 v1, v7
	v_lshl_add_u64 v[0:1], v[0:1], 2, v[4:5]
	global_store_dword v[0:1], v9, off
	v_add_u32_e32 v0, 64, v6
	v_mov_b32_e32 v1, v7
	v_lshl_add_u64 v[0:1], v[0:1], 2, v[4:5]
	ds_read2_b32 v[8:9], v10 offset0:96 offset1:112
	s_waitcnt lgkmcnt(1)
	global_store_dword v[0:1], v2, off
	v_add_u32_e32 v0, 0x50, v6
	v_mov_b32_e32 v1, v7
	;; [unrolled: 10-line block ×4, first 2 shown]
	v_lshl_add_u64 v[0:1], v[0:1], 2, v[4:5]
	global_store_dword v[0:1], v3, off
	v_add_u32_e32 v0, 0xa0, v6
	v_mov_b32_e32 v1, v7
	ds_read_b32 v2, v10 offset:768
	v_lshl_add_u64 v[0:1], v[0:1], 2, v[4:5]
	s_waitcnt lgkmcnt(1)
	global_store_dword v[0:1], v8, off
	v_add_u32_e32 v0, 0xb0, v6
	v_mov_b32_e32 v1, v7
	v_lshl_add_u64 v[0:1], v[0:1], 2, v[4:5]
	v_add_u32_e32 v6, 0xc0, v6
	global_store_dword v[0:1], v9, off
	v_lshl_add_u64 v[0:1], v[6:7], 2, v[4:5]
	s_waitcnt lgkmcnt(0)
	global_store_dword v[0:1], v2, off
.LBB0_25:
	s_endpgm
	.section	.rodata,"a",@progbits
	.p2align	6, 0x0
	.amdhsa_kernel fft_rtc_fwd_len208_factors_13_16_wgs_64_tpt_16_halfLds_half_ip_CI_unitstride_sbrr_C2R_dirReg
		.amdhsa_group_segment_fixed_size 0
		.amdhsa_private_segment_fixed_size 0
		.amdhsa_kernarg_size 88
		.amdhsa_user_sgpr_count 2
		.amdhsa_user_sgpr_dispatch_ptr 0
		.amdhsa_user_sgpr_queue_ptr 0
		.amdhsa_user_sgpr_kernarg_segment_ptr 1
		.amdhsa_user_sgpr_dispatch_id 0
		.amdhsa_user_sgpr_kernarg_preload_length 0
		.amdhsa_user_sgpr_kernarg_preload_offset 0
		.amdhsa_user_sgpr_private_segment_size 0
		.amdhsa_uses_dynamic_stack 0
		.amdhsa_enable_private_segment 0
		.amdhsa_system_sgpr_workgroup_id_x 1
		.amdhsa_system_sgpr_workgroup_id_y 0
		.amdhsa_system_sgpr_workgroup_id_z 0
		.amdhsa_system_sgpr_workgroup_info 0
		.amdhsa_system_vgpr_workitem_id 0
		.amdhsa_next_free_vgpr 61
		.amdhsa_next_free_sgpr 22
		.amdhsa_accum_offset 64
		.amdhsa_reserve_vcc 1
		.amdhsa_float_round_mode_32 0
		.amdhsa_float_round_mode_16_64 0
		.amdhsa_float_denorm_mode_32 3
		.amdhsa_float_denorm_mode_16_64 3
		.amdhsa_dx10_clamp 1
		.amdhsa_ieee_mode 1
		.amdhsa_fp16_overflow 0
		.amdhsa_tg_split 0
		.amdhsa_exception_fp_ieee_invalid_op 0
		.amdhsa_exception_fp_denorm_src 0
		.amdhsa_exception_fp_ieee_div_zero 0
		.amdhsa_exception_fp_ieee_overflow 0
		.amdhsa_exception_fp_ieee_underflow 0
		.amdhsa_exception_fp_ieee_inexact 0
		.amdhsa_exception_int_div_zero 0
	.end_amdhsa_kernel
	.text
.Lfunc_end0:
	.size	fft_rtc_fwd_len208_factors_13_16_wgs_64_tpt_16_halfLds_half_ip_CI_unitstride_sbrr_C2R_dirReg, .Lfunc_end0-fft_rtc_fwd_len208_factors_13_16_wgs_64_tpt_16_halfLds_half_ip_CI_unitstride_sbrr_C2R_dirReg
                                        ; -- End function
	.section	.AMDGPU.csdata,"",@progbits
; Kernel info:
; codeLenInByte = 7988
; NumSgprs: 28
; NumVgprs: 61
; NumAgprs: 0
; TotalNumVgprs: 61
; ScratchSize: 0
; MemoryBound: 0
; FloatMode: 240
; IeeeMode: 1
; LDSByteSize: 0 bytes/workgroup (compile time only)
; SGPRBlocks: 3
; VGPRBlocks: 7
; NumSGPRsForWavesPerEU: 28
; NumVGPRsForWavesPerEU: 61
; AccumOffset: 64
; Occupancy: 8
; WaveLimiterHint : 1
; COMPUTE_PGM_RSRC2:SCRATCH_EN: 0
; COMPUTE_PGM_RSRC2:USER_SGPR: 2
; COMPUTE_PGM_RSRC2:TRAP_HANDLER: 0
; COMPUTE_PGM_RSRC2:TGID_X_EN: 1
; COMPUTE_PGM_RSRC2:TGID_Y_EN: 0
; COMPUTE_PGM_RSRC2:TGID_Z_EN: 0
; COMPUTE_PGM_RSRC2:TIDIG_COMP_CNT: 0
; COMPUTE_PGM_RSRC3_GFX90A:ACCUM_OFFSET: 15
; COMPUTE_PGM_RSRC3_GFX90A:TG_SPLIT: 0
	.text
	.p2alignl 6, 3212836864
	.fill 256, 4, 3212836864
	.type	__hip_cuid_6e8eee3749ee9a47,@object ; @__hip_cuid_6e8eee3749ee9a47
	.section	.bss,"aw",@nobits
	.globl	__hip_cuid_6e8eee3749ee9a47
__hip_cuid_6e8eee3749ee9a47:
	.byte	0                               ; 0x0
	.size	__hip_cuid_6e8eee3749ee9a47, 1

	.ident	"AMD clang version 19.0.0git (https://github.com/RadeonOpenCompute/llvm-project roc-6.4.0 25133 c7fe45cf4b819c5991fe208aaa96edf142730f1d)"
	.section	".note.GNU-stack","",@progbits
	.addrsig
	.addrsig_sym __hip_cuid_6e8eee3749ee9a47
	.amdgpu_metadata
---
amdhsa.kernels:
  - .agpr_count:     0
    .args:
      - .actual_access:  read_only
        .address_space:  global
        .offset:         0
        .size:           8
        .value_kind:     global_buffer
      - .offset:         8
        .size:           8
        .value_kind:     by_value
      - .actual_access:  read_only
        .address_space:  global
        .offset:         16
        .size:           8
        .value_kind:     global_buffer
      - .actual_access:  read_only
        .address_space:  global
        .offset:         24
        .size:           8
        .value_kind:     global_buffer
      - .offset:         32
        .size:           8
        .value_kind:     by_value
      - .actual_access:  read_only
        .address_space:  global
        .offset:         40
        .size:           8
        .value_kind:     global_buffer
      - .actual_access:  read_only
        .address_space:  global
        .offset:         48
        .size:           8
        .value_kind:     global_buffer
      - .offset:         56
        .size:           4
        .value_kind:     by_value
      - .actual_access:  read_only
        .address_space:  global
        .offset:         64
        .size:           8
        .value_kind:     global_buffer
      - .actual_access:  read_only
        .address_space:  global
        .offset:         72
        .size:           8
        .value_kind:     global_buffer
      - .address_space:  global
        .offset:         80
        .size:           8
        .value_kind:     global_buffer
    .group_segment_fixed_size: 0
    .kernarg_segment_align: 8
    .kernarg_segment_size: 88
    .language:       OpenCL C
    .language_version:
      - 2
      - 0
    .max_flat_workgroup_size: 64
    .name:           fft_rtc_fwd_len208_factors_13_16_wgs_64_tpt_16_halfLds_half_ip_CI_unitstride_sbrr_C2R_dirReg
    .private_segment_fixed_size: 0
    .sgpr_count:     28
    .sgpr_spill_count: 0
    .symbol:         fft_rtc_fwd_len208_factors_13_16_wgs_64_tpt_16_halfLds_half_ip_CI_unitstride_sbrr_C2R_dirReg.kd
    .uniform_work_group_size: 1
    .uses_dynamic_stack: false
    .vgpr_count:     61
    .vgpr_spill_count: 0
    .wavefront_size: 64
amdhsa.target:   amdgcn-amd-amdhsa--gfx950
amdhsa.version:
  - 1
  - 2
...

	.end_amdgpu_metadata
